;; amdgpu-corpus repo=ROCm/rocFFT kind=compiled arch=gfx1030 opt=O3
	.text
	.amdgcn_target "amdgcn-amd-amdhsa--gfx1030"
	.amdhsa_code_object_version 6
	.protected	fft_rtc_back_len1056_factors_2_2_2_2_11_6_wgs_176_tpt_176_halfLds_dp_ip_CI_unitstride_sbrr_C2R_dirReg ; -- Begin function fft_rtc_back_len1056_factors_2_2_2_2_11_6_wgs_176_tpt_176_halfLds_dp_ip_CI_unitstride_sbrr_C2R_dirReg
	.globl	fft_rtc_back_len1056_factors_2_2_2_2_11_6_wgs_176_tpt_176_halfLds_dp_ip_CI_unitstride_sbrr_C2R_dirReg
	.p2align	8
	.type	fft_rtc_back_len1056_factors_2_2_2_2_11_6_wgs_176_tpt_176_halfLds_dp_ip_CI_unitstride_sbrr_C2R_dirReg,@function
fft_rtc_back_len1056_factors_2_2_2_2_11_6_wgs_176_tpt_176_halfLds_dp_ip_CI_unitstride_sbrr_C2R_dirReg: ; @fft_rtc_back_len1056_factors_2_2_2_2_11_6_wgs_176_tpt_176_halfLds_dp_ip_CI_unitstride_sbrr_C2R_dirReg
; %bb.0:
	s_clause 0x2
	s_load_dwordx4 s[8:11], s[4:5], 0x0
	s_load_dwordx2 s[2:3], s[4:5], 0x50
	s_load_dwordx2 s[12:13], s[4:5], 0x18
	v_mul_u32_u24_e32 v1, 0x175, v0
	v_mov_b32_e32 v3, 0
	v_add_nc_u32_sdwa v5, s6, v1 dst_sel:DWORD dst_unused:UNUSED_PAD src0_sel:DWORD src1_sel:WORD_1
	v_mov_b32_e32 v1, 0
	v_mov_b32_e32 v6, v3
	v_mov_b32_e32 v2, 0
	s_waitcnt lgkmcnt(0)
	v_cmp_lt_u64_e64 s0, s[10:11], 2
	s_and_b32 vcc_lo, exec_lo, s0
	s_cbranch_vccnz .LBB0_8
; %bb.1:
	s_load_dwordx2 s[0:1], s[4:5], 0x10
	v_mov_b32_e32 v1, 0
	s_add_u32 s6, s12, 8
	v_mov_b32_e32 v2, 0
	s_addc_u32 s7, s13, 0
	s_mov_b64 s[16:17], 1
	s_waitcnt lgkmcnt(0)
	s_add_u32 s14, s0, 8
	s_addc_u32 s15, s1, 0
.LBB0_2:                                ; =>This Inner Loop Header: Depth=1
	s_load_dwordx2 s[18:19], s[14:15], 0x0
                                        ; implicit-def: $vgpr7_vgpr8
	s_mov_b32 s0, exec_lo
	s_waitcnt lgkmcnt(0)
	v_or_b32_e32 v4, s19, v6
	v_cmpx_ne_u64_e32 0, v[3:4]
	s_xor_b32 s1, exec_lo, s0
	s_cbranch_execz .LBB0_4
; %bb.3:                                ;   in Loop: Header=BB0_2 Depth=1
	v_cvt_f32_u32_e32 v4, s18
	v_cvt_f32_u32_e32 v7, s19
	s_sub_u32 s0, 0, s18
	s_subb_u32 s20, 0, s19
	v_fmac_f32_e32 v4, 0x4f800000, v7
	v_rcp_f32_e32 v4, v4
	v_mul_f32_e32 v4, 0x5f7ffffc, v4
	v_mul_f32_e32 v7, 0x2f800000, v4
	v_trunc_f32_e32 v7, v7
	v_fmac_f32_e32 v4, 0xcf800000, v7
	v_cvt_u32_f32_e32 v7, v7
	v_cvt_u32_f32_e32 v4, v4
	v_mul_lo_u32 v8, s0, v7
	v_mul_hi_u32 v9, s0, v4
	v_mul_lo_u32 v10, s20, v4
	v_add_nc_u32_e32 v8, v9, v8
	v_mul_lo_u32 v9, s0, v4
	v_add_nc_u32_e32 v8, v8, v10
	v_mul_hi_u32 v10, v4, v9
	v_mul_lo_u32 v11, v4, v8
	v_mul_hi_u32 v12, v4, v8
	v_mul_hi_u32 v13, v7, v9
	v_mul_lo_u32 v9, v7, v9
	v_mul_hi_u32 v14, v7, v8
	v_mul_lo_u32 v8, v7, v8
	v_add_co_u32 v10, vcc_lo, v10, v11
	v_add_co_ci_u32_e32 v11, vcc_lo, 0, v12, vcc_lo
	v_add_co_u32 v9, vcc_lo, v10, v9
	v_add_co_ci_u32_e32 v9, vcc_lo, v11, v13, vcc_lo
	v_add_co_ci_u32_e32 v10, vcc_lo, 0, v14, vcc_lo
	v_add_co_u32 v8, vcc_lo, v9, v8
	v_add_co_ci_u32_e32 v9, vcc_lo, 0, v10, vcc_lo
	v_add_co_u32 v4, vcc_lo, v4, v8
	v_add_co_ci_u32_e32 v7, vcc_lo, v7, v9, vcc_lo
	v_mul_hi_u32 v8, s0, v4
	v_mul_lo_u32 v10, s20, v4
	v_mul_lo_u32 v9, s0, v7
	v_add_nc_u32_e32 v8, v8, v9
	v_mul_lo_u32 v9, s0, v4
	v_add_nc_u32_e32 v8, v8, v10
	v_mul_hi_u32 v10, v4, v9
	v_mul_lo_u32 v11, v4, v8
	v_mul_hi_u32 v12, v4, v8
	v_mul_hi_u32 v13, v7, v9
	v_mul_lo_u32 v9, v7, v9
	v_mul_hi_u32 v14, v7, v8
	v_mul_lo_u32 v8, v7, v8
	v_add_co_u32 v10, vcc_lo, v10, v11
	v_add_co_ci_u32_e32 v11, vcc_lo, 0, v12, vcc_lo
	v_add_co_u32 v9, vcc_lo, v10, v9
	v_add_co_ci_u32_e32 v9, vcc_lo, v11, v13, vcc_lo
	v_add_co_ci_u32_e32 v10, vcc_lo, 0, v14, vcc_lo
	v_add_co_u32 v8, vcc_lo, v9, v8
	v_add_co_ci_u32_e32 v9, vcc_lo, 0, v10, vcc_lo
	v_add_co_u32 v4, vcc_lo, v4, v8
	v_add_co_ci_u32_e32 v11, vcc_lo, v7, v9, vcc_lo
	v_mul_hi_u32 v13, v5, v4
	v_mad_u64_u32 v[9:10], null, v6, v4, 0
	v_mad_u64_u32 v[7:8], null, v5, v11, 0
	;; [unrolled: 1-line block ×3, first 2 shown]
	v_add_co_u32 v4, vcc_lo, v13, v7
	v_add_co_ci_u32_e32 v7, vcc_lo, 0, v8, vcc_lo
	v_add_co_u32 v4, vcc_lo, v4, v9
	v_add_co_ci_u32_e32 v4, vcc_lo, v7, v10, vcc_lo
	v_add_co_ci_u32_e32 v7, vcc_lo, 0, v12, vcc_lo
	v_add_co_u32 v4, vcc_lo, v4, v11
	v_add_co_ci_u32_e32 v9, vcc_lo, 0, v7, vcc_lo
	v_mul_lo_u32 v10, s19, v4
	v_mad_u64_u32 v[7:8], null, s18, v4, 0
	v_mul_lo_u32 v11, s18, v9
	v_sub_co_u32 v7, vcc_lo, v5, v7
	v_add3_u32 v8, v8, v11, v10
	v_sub_nc_u32_e32 v10, v6, v8
	v_subrev_co_ci_u32_e64 v10, s0, s19, v10, vcc_lo
	v_add_co_u32 v11, s0, v4, 2
	v_add_co_ci_u32_e64 v12, s0, 0, v9, s0
	v_sub_co_u32 v13, s0, v7, s18
	v_sub_co_ci_u32_e32 v8, vcc_lo, v6, v8, vcc_lo
	v_subrev_co_ci_u32_e64 v10, s0, 0, v10, s0
	v_cmp_le_u32_e32 vcc_lo, s18, v13
	v_cmp_eq_u32_e64 s0, s19, v8
	v_cndmask_b32_e64 v13, 0, -1, vcc_lo
	v_cmp_le_u32_e32 vcc_lo, s19, v10
	v_cndmask_b32_e64 v14, 0, -1, vcc_lo
	v_cmp_le_u32_e32 vcc_lo, s18, v7
	;; [unrolled: 2-line block ×3, first 2 shown]
	v_cndmask_b32_e64 v15, 0, -1, vcc_lo
	v_cmp_eq_u32_e32 vcc_lo, s19, v10
	v_cndmask_b32_e64 v7, v15, v7, s0
	v_cndmask_b32_e32 v10, v14, v13, vcc_lo
	v_add_co_u32 v13, vcc_lo, v4, 1
	v_add_co_ci_u32_e32 v14, vcc_lo, 0, v9, vcc_lo
	v_cmp_ne_u32_e32 vcc_lo, 0, v10
	v_cndmask_b32_e32 v8, v14, v12, vcc_lo
	v_cndmask_b32_e32 v10, v13, v11, vcc_lo
	v_cmp_ne_u32_e32 vcc_lo, 0, v7
	v_cndmask_b32_e32 v8, v9, v8, vcc_lo
	v_cndmask_b32_e32 v7, v4, v10, vcc_lo
.LBB0_4:                                ;   in Loop: Header=BB0_2 Depth=1
	s_andn2_saveexec_b32 s0, s1
	s_cbranch_execz .LBB0_6
; %bb.5:                                ;   in Loop: Header=BB0_2 Depth=1
	v_cvt_f32_u32_e32 v4, s18
	s_sub_i32 s1, 0, s18
	v_rcp_iflag_f32_e32 v4, v4
	v_mul_f32_e32 v4, 0x4f7ffffe, v4
	v_cvt_u32_f32_e32 v4, v4
	v_mul_lo_u32 v7, s1, v4
	v_mul_hi_u32 v7, v4, v7
	v_add_nc_u32_e32 v4, v4, v7
	v_mul_hi_u32 v4, v5, v4
	v_mul_lo_u32 v7, v4, s18
	v_add_nc_u32_e32 v8, 1, v4
	v_sub_nc_u32_e32 v7, v5, v7
	v_subrev_nc_u32_e32 v9, s18, v7
	v_cmp_le_u32_e32 vcc_lo, s18, v7
	v_cndmask_b32_e32 v7, v7, v9, vcc_lo
	v_cndmask_b32_e32 v4, v4, v8, vcc_lo
	v_cmp_le_u32_e32 vcc_lo, s18, v7
	v_add_nc_u32_e32 v8, 1, v4
	v_cndmask_b32_e32 v7, v4, v8, vcc_lo
	v_mov_b32_e32 v8, v3
.LBB0_6:                                ;   in Loop: Header=BB0_2 Depth=1
	s_or_b32 exec_lo, exec_lo, s0
	s_load_dwordx2 s[0:1], s[6:7], 0x0
	v_mul_lo_u32 v4, v8, s18
	v_mul_lo_u32 v11, v7, s19
	v_mad_u64_u32 v[9:10], null, v7, s18, 0
	s_add_u32 s16, s16, 1
	s_addc_u32 s17, s17, 0
	s_add_u32 s6, s6, 8
	s_addc_u32 s7, s7, 0
	;; [unrolled: 2-line block ×3, first 2 shown]
	v_add3_u32 v4, v10, v11, v4
	v_sub_co_u32 v5, vcc_lo, v5, v9
	v_sub_co_ci_u32_e32 v4, vcc_lo, v6, v4, vcc_lo
	s_waitcnt lgkmcnt(0)
	v_mul_lo_u32 v6, s1, v5
	v_mul_lo_u32 v4, s0, v4
	v_mad_u64_u32 v[1:2], null, s0, v5, v[1:2]
	v_cmp_ge_u64_e64 s0, s[16:17], s[10:11]
	s_and_b32 vcc_lo, exec_lo, s0
	v_add3_u32 v2, v6, v2, v4
	s_cbranch_vccnz .LBB0_9
; %bb.7:                                ;   in Loop: Header=BB0_2 Depth=1
	v_mov_b32_e32 v5, v7
	v_mov_b32_e32 v6, v8
	s_branch .LBB0_2
.LBB0_8:
	v_mov_b32_e32 v8, v6
	v_mov_b32_e32 v7, v5
.LBB0_9:
	s_lshl_b64 s[0:1], s[10:11], 3
	v_mul_hi_u32 v5, 0x1745d18, v0
	s_add_u32 s0, s12, s0
	s_addc_u32 s1, s13, s1
	s_load_dwordx2 s[0:1], s[0:1], 0x0
	s_load_dwordx2 s[4:5], s[4:5], 0x20
	s_waitcnt lgkmcnt(0)
	v_mul_lo_u32 v3, s0, v8
	v_mul_lo_u32 v4, s1, v7
	v_mad_u64_u32 v[1:2], null, s0, v7, v[1:2]
	v_cmp_gt_u64_e32 vcc_lo, s[4:5], v[7:8]
	v_add3_u32 v2, v4, v2, v3
	v_mul_u32_u24_e32 v3, 0xb0, v5
	v_lshlrev_b64 v[54:55], 4, v[1:2]
	v_sub_nc_u32_e32 v52, v0, v3
	s_and_saveexec_b32 s1, vcc_lo
	s_cbranch_execz .LBB0_13
; %bb.10:
	v_mov_b32_e32 v53, 0
	v_add_co_u32 v0, s0, s2, v54
	v_add_co_ci_u32_e64 v1, s0, s3, v55, s0
	v_lshlrev_b64 v[2:3], 4, v[52:53]
	v_lshl_add_u32 v26, v52, 4, 0
	s_mov_b32 s4, exec_lo
	v_add_co_u32 v2, s0, v0, v2
	v_add_co_ci_u32_e64 v3, s0, v1, v3, s0
	v_add_co_u32 v6, s0, 0x800, v2
	v_add_co_ci_u32_e64 v7, s0, 0, v3, s0
	;; [unrolled: 2-line block ×6, first 2 shown]
	s_clause 0x5
	global_load_dwordx4 v[2:5], v[2:3], off
	global_load_dwordx4 v[6:9], v[6:7], off offset:768
	global_load_dwordx4 v[10:13], v[10:11], off offset:1536
	;; [unrolled: 1-line block ×5, first 2 shown]
	s_waitcnt vmcnt(5)
	ds_write_b128 v26, v[2:5]
	s_waitcnt vmcnt(4)
	ds_write_b128 v26, v[6:9] offset:2816
	s_waitcnt vmcnt(3)
	ds_write_b128 v26, v[10:13] offset:5632
	s_waitcnt vmcnt(2)
	ds_write_b128 v26, v[14:17] offset:8448
	s_waitcnt vmcnt(1)
	ds_write_b128 v26, v[18:21] offset:11264
	s_waitcnt vmcnt(0)
	ds_write_b128 v26, v[22:25] offset:14080
	v_cmpx_eq_u32_e32 0xaf, v52
	s_cbranch_execz .LBB0_12
; %bb.11:
	v_add_co_u32 v0, s0, 0x4000, v0
	v_add_co_ci_u32_e64 v1, s0, 0, v1, s0
	v_mov_b32_e32 v52, 0xaf
	global_load_dwordx4 v[0:3], v[0:1], off offset:512
	s_waitcnt vmcnt(0)
	ds_write_b128 v53, v[0:3] offset:16896
.LBB0_12:
	s_or_b32 exec_lo, exec_lo, s4
.LBB0_13:
	s_or_b32 exec_lo, exec_lo, s1
	v_lshlrev_b32_e32 v0, 4, v52
	s_waitcnt lgkmcnt(0)
	s_barrier
	buffer_gl0_inv
	s_add_u32 s1, s8, 0x41e0
	v_add_nc_u32_e32 v68, 0, v0
	v_sub_nc_u32_e32 v4, 0, v0
	s_addc_u32 s4, s9, 0
	s_mov_b32 s5, exec_lo
	ds_read_b64 v[2:3], v68
	ds_read_b64 v[5:6], v4 offset:16896
	s_waitcnt lgkmcnt(0)
	v_add_f64 v[0:1], v[2:3], v[5:6]
	v_add_f64 v[2:3], v[2:3], -v[5:6]
	v_cmpx_ne_u32_e32 0, v52
	s_xor_b32 s5, exec_lo, s5
	s_cbranch_execz .LBB0_15
; %bb.14:
	v_mov_b32_e32 v53, 0
	v_lshlrev_b64 v[5:6], 4, v[52:53]
	v_add_co_u32 v5, s0, s1, v5
	v_add_co_ci_u32_e64 v6, s0, s4, v6, s0
	global_load_dwordx4 v[5:8], v[5:6], off
	ds_read_b64 v[9:10], v4 offset:16904
	ds_read_b64 v[11:12], v68 offset:8
	s_waitcnt lgkmcnt(0)
	v_add_f64 v[13:14], v[9:10], v[11:12]
	v_add_f64 v[9:10], v[11:12], -v[9:10]
	s_waitcnt vmcnt(0)
	v_fma_f64 v[11:12], v[2:3], v[7:8], v[0:1]
	v_fma_f64 v[15:16], v[13:14], v[7:8], v[9:10]
	v_fma_f64 v[0:1], -v[2:3], v[7:8], v[0:1]
	v_fma_f64 v[17:18], v[13:14], v[7:8], -v[9:10]
	v_fma_f64 v[7:8], -v[13:14], v[5:6], v[11:12]
	v_fma_f64 v[9:10], v[2:3], v[5:6], v[15:16]
	v_fma_f64 v[0:1], v[13:14], v[5:6], v[0:1]
	;; [unrolled: 1-line block ×3, first 2 shown]
	ds_write_b128 v68, v[7:10]
	ds_write_b128 v4, v[0:3] offset:16896
                                        ; implicit-def: $vgpr0_vgpr1
.LBB0_15:
	s_andn2_saveexec_b32 s0, s5
	s_cbranch_execz .LBB0_17
; %bb.16:
	v_mov_b32_e32 v5, 0
	ds_write_b128 v68, v[0:3]
	ds_read_b128 v[0:3], v5 offset:8448
	s_waitcnt lgkmcnt(0)
	v_add_f64 v[0:1], v[0:1], v[0:1]
	v_mul_f64 v[2:3], v[2:3], -2.0
	ds_write_b128 v5, v[0:3] offset:8448
.LBB0_17:
	s_or_b32 exec_lo, exec_lo, s0
	v_add_nc_u32_e32 v28, 0xb0, v52
	v_mov_b32_e32 v29, 0
	v_add_nc_u32_e32 v30, 0x160, v52
	v_lshl_add_u32 v24, v52, 4, v68
	v_and_b32_e32 v43, 7, v52
	v_lshl_add_u32 v25, v28, 5, 0
	v_lshlrev_b64 v[0:1], 4, v[28:29]
	v_mov_b32_e32 v31, v29
	v_and_b32_e32 v29, 1, v52
	v_lshl_add_u32 v26, v30, 5, 0
	v_lshlrev_b32_e32 v41, 1, v28
	v_lshlrev_b32_e32 v42, 1, v30
	v_add_co_u32 v0, s0, s1, v0
	v_add_co_ci_u32_e64 v1, s0, s4, v1, s0
	v_lshlrev_b64 v[5:6], 4, v[30:31]
	v_lshlrev_b32_e32 v27, 4, v29
                                        ; implicit-def: $vgpr50_vgpr51
                                        ; implicit-def: $vgpr46_vgpr47
	global_load_dwordx4 v[0:3], v[0:1], off
	v_add_co_u32 v5, s0, s1, v5
	v_add_co_ci_u32_e64 v6, s0, s4, v6, s0
	v_cmp_gt_u32_e64 s0, 0x60, v52
	global_load_dwordx4 v[5:8], v[5:6], off
	ds_read_b128 v[9:12], v68 offset:2816
	ds_read_b128 v[13:16], v4 offset:14080
	s_waitcnt lgkmcnt(0)
	v_add_f64 v[17:18], v[9:10], v[13:14]
	v_add_f64 v[19:20], v[15:16], v[11:12]
	v_add_f64 v[21:22], v[9:10], -v[13:14]
	v_add_f64 v[9:10], v[11:12], -v[15:16]
	s_waitcnt vmcnt(1)
	v_fma_f64 v[11:12], v[21:22], v[2:3], v[17:18]
	v_fma_f64 v[13:14], v[19:20], v[2:3], v[9:10]
	v_fma_f64 v[15:16], -v[21:22], v[2:3], v[17:18]
	v_fma_f64 v[2:3], v[19:20], v[2:3], -v[9:10]
	v_fma_f64 v[9:10], -v[19:20], v[0:1], v[11:12]
	v_fma_f64 v[11:12], v[21:22], v[0:1], v[13:14]
	v_fma_f64 v[13:14], v[19:20], v[0:1], v[15:16]
	v_fma_f64 v[15:16], v[21:22], v[0:1], v[2:3]
	ds_write_b128 v68, v[9:12] offset:2816
	ds_write_b128 v4, v[13:16] offset:14080
	ds_read_b128 v[0:3], v68 offset:5632
	ds_read_b128 v[9:12], v4 offset:11264
	s_waitcnt lgkmcnt(0)
	v_add_f64 v[13:14], v[0:1], v[9:10]
	v_add_f64 v[15:16], v[11:12], v[2:3]
	v_add_f64 v[9:10], v[0:1], -v[9:10]
	v_add_f64 v[0:1], v[2:3], -v[11:12]
	s_waitcnt vmcnt(0)
	v_fma_f64 v[2:3], v[9:10], v[7:8], v[13:14]
	v_fma_f64 v[11:12], v[15:16], v[7:8], v[0:1]
	v_fma_f64 v[13:14], -v[9:10], v[7:8], v[13:14]
	v_fma_f64 v[17:18], v[15:16], v[7:8], -v[0:1]
	v_fma_f64 v[0:1], -v[15:16], v[5:6], v[2:3]
	v_fma_f64 v[2:3], v[9:10], v[5:6], v[11:12]
	v_fma_f64 v[7:8], v[15:16], v[5:6], v[13:14]
	;; [unrolled: 1-line block ×3, first 2 shown]
	ds_write_b128 v68, v[0:3] offset:5632
	ds_write_b128 v4, v[7:10] offset:11264
	s_waitcnt lgkmcnt(0)
	s_barrier
	buffer_gl0_inv
	s_barrier
	buffer_gl0_inv
	ds_read_b128 v[0:3], v68 offset:8448
	ds_read_b128 v[4:7], v68
	ds_read_b128 v[8:11], v68 offset:2816
	ds_read_b128 v[12:15], v68 offset:11264
	;; [unrolled: 1-line block ×4, first 2 shown]
	s_waitcnt lgkmcnt(0)
	s_barrier
	buffer_gl0_inv
	v_add_f64 v[0:1], v[4:5], -v[0:1]
	v_add_f64 v[2:3], v[6:7], -v[2:3]
	;; [unrolled: 1-line block ×6, first 2 shown]
	v_fma_f64 v[4:5], v[4:5], 2.0, -v[0:1]
	v_fma_f64 v[6:7], v[6:7], 2.0, -v[2:3]
	v_fma_f64 v[8:9], v[8:9], 2.0, -v[12:13]
	v_fma_f64 v[10:11], v[10:11], 2.0, -v[14:15]
	v_fma_f64 v[16:17], v[16:17], 2.0, -v[20:21]
	v_fma_f64 v[18:19], v[18:19], 2.0, -v[22:23]
	ds_write_b128 v24, v[0:3] offset:16
	ds_write_b128 v25, v[12:15] offset:16
	;; [unrolled: 1-line block ×3, first 2 shown]
	ds_write_b128 v24, v[4:7]
	ds_write_b128 v25, v[8:11]
	;; [unrolled: 1-line block ×3, first 2 shown]
	s_waitcnt lgkmcnt(0)
	s_barrier
	buffer_gl0_inv
	global_load_dwordx4 v[0:3], v27, s[8:9]
	ds_read_b128 v[4:7], v68 offset:8448
	ds_read_b128 v[8:11], v68 offset:11264
	;; [unrolled: 1-line block ×4, first 2 shown]
	ds_read_b128 v[20:23], v68
	ds_read_b128 v[24:27], v68 offset:2816
	s_waitcnt vmcnt(0) lgkmcnt(0)
	s_barrier
	buffer_gl0_inv
	v_mul_f64 v[31:32], v[6:7], v[2:3]
	v_mul_f64 v[33:34], v[4:5], v[2:3]
	;; [unrolled: 1-line block ×6, first 2 shown]
	v_fma_f64 v[4:5], v[4:5], v[0:1], v[31:32]
	v_fma_f64 v[6:7], v[6:7], v[0:1], -v[33:34]
	v_fma_f64 v[8:9], v[8:9], v[0:1], v[35:36]
	v_fma_f64 v[10:11], v[10:11], v[0:1], -v[37:38]
	;; [unrolled: 2-line block ×3, first 2 shown]
	v_lshlrev_b32_e32 v40, 1, v52
	v_and_b32_e32 v38, 3, v52
	v_add_f64 v[0:1], v[20:21], -v[4:5]
	v_add_f64 v[2:3], v[22:23], -v[6:7]
	;; [unrolled: 1-line block ×6, first 2 shown]
	v_fma_f64 v[12:13], v[20:21], 2.0, -v[0:1]
	v_fma_f64 v[14:15], v[22:23], 2.0, -v[2:3]
	;; [unrolled: 1-line block ×6, first 2 shown]
	v_and_or_b32 v24, 0x1fc, v40, v29
	v_and_or_b32 v25, 0x3fc, v41, v29
	;; [unrolled: 1-line block ×3, first 2 shown]
	v_lshlrev_b32_e32 v27, 4, v38
	v_lshl_add_u32 v24, v24, 4, 0
	v_lshl_add_u32 v25, v25, 4, 0
	;; [unrolled: 1-line block ×3, first 2 shown]
	ds_write_b128 v24, v[0:3] offset:32
	ds_write_b128 v24, v[12:15]
	ds_write_b128 v25, v[20:23]
	ds_write_b128 v25, v[4:7] offset:32
	ds_write_b128 v26, v[16:19]
	ds_write_b128 v26, v[8:11] offset:32
	s_waitcnt lgkmcnt(0)
	s_barrier
	buffer_gl0_inv
	global_load_dwordx4 v[0:3], v27, s[8:9] offset:32
	ds_read_b128 v[4:7], v68 offset:8448
	ds_read_b128 v[8:11], v68 offset:11264
	;; [unrolled: 1-line block ×4, first 2 shown]
	ds_read_b128 v[20:23], v68
	ds_read_b128 v[24:27], v68 offset:2816
	s_waitcnt vmcnt(0) lgkmcnt(0)
	s_barrier
	buffer_gl0_inv
	v_mul_f64 v[28:29], v[6:7], v[2:3]
	v_mul_f64 v[30:31], v[4:5], v[2:3]
	;; [unrolled: 1-line block ×6, first 2 shown]
	v_fma_f64 v[4:5], v[4:5], v[0:1], v[28:29]
	v_fma_f64 v[6:7], v[6:7], v[0:1], -v[30:31]
	v_fma_f64 v[8:9], v[8:9], v[0:1], v[32:33]
	v_fma_f64 v[10:11], v[10:11], v[0:1], -v[34:35]
	;; [unrolled: 2-line block ×3, first 2 shown]
	v_add_f64 v[0:1], v[20:21], -v[4:5]
	v_add_f64 v[2:3], v[22:23], -v[6:7]
	;; [unrolled: 1-line block ×6, first 2 shown]
	v_fma_f64 v[12:13], v[20:21], 2.0, -v[0:1]
	v_fma_f64 v[14:15], v[22:23], 2.0, -v[2:3]
	;; [unrolled: 1-line block ×6, first 2 shown]
	v_and_or_b32 v24, 0x1f8, v40, v38
	v_and_or_b32 v25, 0x3f8, v41, v38
	;; [unrolled: 1-line block ×3, first 2 shown]
	v_lshlrev_b32_e32 v27, 4, v43
	v_lshl_add_u32 v24, v24, 4, 0
	v_lshl_add_u32 v25, v25, 4, 0
	;; [unrolled: 1-line block ×3, first 2 shown]
	ds_write_b128 v24, v[0:3] offset:64
	ds_write_b128 v24, v[12:15]
	ds_write_b128 v25, v[20:23]
	ds_write_b128 v25, v[4:7] offset:64
	ds_write_b128 v26, v[16:19]
	ds_write_b128 v26, v[8:11] offset:64
	s_waitcnt lgkmcnt(0)
	s_barrier
	buffer_gl0_inv
	global_load_dwordx4 v[0:3], v27, s[8:9] offset:96
	ds_read_b128 v[4:7], v68 offset:8448
	ds_read_b128 v[8:11], v68 offset:11264
	;; [unrolled: 1-line block ×4, first 2 shown]
	ds_read_b128 v[28:31], v68
	ds_read_b128 v[36:39], v68 offset:2816
	s_waitcnt vmcnt(0) lgkmcnt(0)
	s_barrier
	buffer_gl0_inv
	v_mul_f64 v[20:21], v[6:7], v[2:3]
	v_mul_f64 v[22:23], v[4:5], v[2:3]
	;; [unrolled: 1-line block ×6, first 2 shown]
	v_fma_f64 v[4:5], v[4:5], v[0:1], v[20:21]
	v_fma_f64 v[6:7], v[6:7], v[0:1], -v[22:23]
	v_fma_f64 v[8:9], v[8:9], v[0:1], v[24:25]
	v_fma_f64 v[10:11], v[10:11], v[0:1], -v[26:27]
	;; [unrolled: 2-line block ×3, first 2 shown]
	v_add_f64 v[20:21], v[28:29], -v[4:5]
	v_add_f64 v[22:23], v[30:31], -v[6:7]
	;; [unrolled: 1-line block ×6, first 2 shown]
	v_and_or_b32 v8, 0x1f0, v40, v43
	v_and_or_b32 v9, 0x3f0, v41, v43
	;; [unrolled: 1-line block ×3, first 2 shown]
                                        ; implicit-def: $vgpr42_vgpr43
	v_lshl_add_u32 v8, v8, 4, 0
	v_lshl_add_u32 v9, v9, 4, 0
	v_lshl_add_u32 v10, v10, 4, 0
	v_fma_f64 v[0:1], v[28:29], 2.0, -v[20:21]
	v_fma_f64 v[2:3], v[30:31], 2.0, -v[22:23]
	;; [unrolled: 1-line block ×6, first 2 shown]
	ds_write_b128 v8, v[20:23] offset:128
	ds_write_b128 v8, v[0:3]
	ds_write_b128 v9, v[4:7]
	ds_write_b128 v9, v[24:27] offset:128
	ds_write_b128 v10, v[28:31]
	ds_write_b128 v10, v[32:35] offset:128
	s_waitcnt lgkmcnt(0)
	s_barrier
	buffer_gl0_inv
                                        ; implicit-def: $vgpr10_vgpr11
                                        ; implicit-def: $vgpr38_vgpr39
	s_and_saveexec_b32 s1, s0
	s_cbranch_execz .LBB0_19
; %bb.18:
	ds_read_b128 v[0:3], v68
	ds_read_b128 v[20:23], v68 offset:1536
	ds_read_b128 v[4:7], v68 offset:3072
	ds_read_b128 v[24:27], v68 offset:4608
	ds_read_b128 v[28:31], v68 offset:6144
	ds_read_b128 v[32:35], v68 offset:7680
	ds_read_b128 v[36:39], v68 offset:9216
	ds_read_b128 v[40:43], v68 offset:10752
	ds_read_b128 v[44:47], v68 offset:12288
	ds_read_b128 v[8:11], v68 offset:13824
	ds_read_b128 v[48:51], v68 offset:15360
.LBB0_19:
	s_or_b32 exec_lo, exec_lo, s1
	s_waitcnt lgkmcnt(0)
	s_barrier
	buffer_gl0_inv
	s_and_saveexec_b32 s30, s0
	s_cbranch_execz .LBB0_21
; %bb.20:
	v_and_b32_e32 v53, 15, v52
	s_mov_b32 s18, 0xbb3a28a1
	s_mov_b32 s20, 0xf8bb580b
	;; [unrolled: 1-line block ×4, first 2 shown]
	v_mul_u32_u24_e32 v12, 10, v53
	s_mov_b32 s19, 0xbfe82f19
	s_mov_b32 s21, 0x3fe14ced
	;; [unrolled: 1-line block ×4, first 2 shown]
	v_lshlrev_b32_e32 v12, 4, v12
	s_mov_b32 s24, s20
	s_mov_b32 s13, 0xbfefac9e
	s_mov_b32 s17, 0x3fed1bb4
	s_mov_b32 s16, 0x8eee2c13
	s_clause 0x9
	global_load_dwordx4 v[58:61], v12, s[8:9] offset:288
	global_load_dwordx4 v[69:72], v12, s[8:9] offset:304
	;; [unrolled: 1-line block ×10, first 2 shown]
	s_mov_b32 s27, 0x3fd207e7
	s_mov_b32 s26, s22
	;; [unrolled: 1-line block ×14, first 2 shown]
	s_waitcnt vmcnt(9)
	v_mul_f64 v[56:57], v[34:35], v[60:61]
	v_mul_f64 v[97:98], v[32:33], v[60:61]
	s_waitcnt vmcnt(8)
	v_mul_f64 v[99:100], v[38:39], v[71:72]
	v_mul_f64 v[71:72], v[36:37], v[71:72]
	;; [unrolled: 3-line block ×3, first 2 shown]
	s_waitcnt vmcnt(3)
	v_mul_f64 v[109:110], v[22:23], v[91:92]
	s_waitcnt vmcnt(2)
	v_mul_f64 v[111:112], v[50:51], v[95:96]
	v_mul_f64 v[91:92], v[20:21], v[91:92]
	;; [unrolled: 1-line block ×3, first 2 shown]
	s_waitcnt vmcnt(1)
	v_mul_f64 v[60:61], v[6:7], v[18:19]
	v_mul_f64 v[64:65], v[4:5], v[18:19]
	s_waitcnt vmcnt(0)
	v_mul_f64 v[62:63], v[10:11], v[14:15]
	v_mul_f64 v[66:67], v[8:9], v[14:15]
	;; [unrolled: 1-line block ×8, first 2 shown]
	v_fma_f64 v[56:57], v[32:33], v[58:59], v[56:57]
	v_fma_f64 v[58:59], v[34:35], v[58:59], -v[97:98]
	v_fma_f64 v[32:33], v[36:37], v[69:70], v[99:100]
	v_fma_f64 v[34:35], v[38:39], v[69:70], -v[71:72]
	v_fma_f64 v[36:37], v[28:29], v[73:74], v[101:102]
	v_fma_f64 v[38:39], v[30:31], v[73:74], -v[75:76]
	v_fma_f64 v[20:21], v[20:21], v[89:90], v[109:110]
	v_fma_f64 v[14:15], v[48:49], v[93:94], v[111:112]
	v_fma_f64 v[22:23], v[22:23], v[89:90], -v[91:92]
	v_fma_f64 v[18:19], v[50:51], v[93:94], -v[95:96]
	v_fma_f64 v[4:5], v[4:5], v[16:17], v[60:61]
	v_fma_f64 v[6:7], v[6:7], v[16:17], -v[64:65]
	v_fma_f64 v[8:9], v[8:9], v[12:13], v[62:63]
	v_fma_f64 v[10:11], v[10:11], v[12:13], -v[66:67]
	v_fma_f64 v[28:29], v[40:41], v[77:78], v[103:104]
	v_fma_f64 v[30:31], v[42:43], v[77:78], -v[79:80]
	v_fma_f64 v[40:41], v[24:25], v[81:82], v[105:106]
	v_fma_f64 v[42:43], v[26:27], v[81:82], -v[83:84]
	v_fma_f64 v[24:25], v[44:45], v[85:86], v[107:108]
	v_fma_f64 v[26:27], v[46:47], v[85:86], -v[87:88]
	v_lshrrev_b32_e32 v44, 4, v52
	v_add_f64 v[87:88], v[56:57], v[32:33]
	v_mul_u32_u24_e32 v239, 0xb0, v44
	v_add_f64 v[44:45], v[56:57], -v[32:33]
	v_add_f64 v[46:47], v[58:59], -v[34:35]
	v_add_f64 v[77:78], v[58:59], v[34:35]
	v_add_f64 v[50:51], v[20:21], -v[14:15]
	v_add_f64 v[66:67], v[20:21], v[14:15]
	;; [unrolled: 2-line block ×3, first 2 shown]
	v_add_f64 v[22:23], v[2:3], v[22:23]
	v_add_f64 v[20:21], v[0:1], v[20:21]
	v_add_f64 v[79:80], v[4:5], -v[8:9]
	v_add_f64 v[81:82], v[6:7], v[10:11]
	v_add_f64 v[83:84], v[6:7], -v[10:11]
	;; [unrolled: 2-line block ×3, first 2 shown]
	v_add_f64 v[16:17], v[38:39], -v[30:31]
	v_add_f64 v[48:49], v[40:41], -v[24:25]
	;; [unrolled: 1-line block ×3, first 2 shown]
	v_add_f64 v[69:70], v[42:43], v[26:27]
	v_add_f64 v[71:72], v[40:41], v[24:25]
	v_add_f64 v[73:74], v[38:39], v[30:31]
	v_add_f64 v[75:76], v[36:37], v[28:29]
	v_mul_f64 v[93:94], v[44:45], s[16:17]
	v_mul_f64 v[95:96], v[46:47], s[16:17]
	;; [unrolled: 1-line block ×7, first 2 shown]
	v_add_f64 v[6:7], v[22:23], v[6:7]
	v_add_f64 v[4:5], v[20:21], v[4:5]
	v_mul_f64 v[111:112], v[62:63], s[18:19]
	v_mul_f64 v[115:116], v[62:63], s[24:25]
	;; [unrolled: 1-line block ×8, first 2 shown]
	s_mov_b32 s17, 0xbfed1bb4
	v_mul_f64 v[155:156], v[83:84], s[26:27]
	v_mul_f64 v[157:158], v[83:84], s[18:19]
	;; [unrolled: 1-line block ×11, first 2 shown]
	v_add_f64 v[6:7], v[6:7], v[42:43]
	v_add_f64 v[4:5], v[4:5], v[40:41]
	v_mul_f64 v[125:126], v[48:49], s[12:13]
	v_mul_f64 v[127:128], v[60:61], s[12:13]
	v_mul_f64 v[48:49], v[48:49], s[26:27]
	v_mul_f64 v[60:61], v[60:61], s[26:27]
	v_mul_f64 v[20:21], v[12:13], s[22:23]
	v_mul_f64 v[22:23], v[12:13], s[24:25]
	v_mul_f64 v[129:130], v[12:13], s[18:19]
	v_mul_f64 v[12:13], v[12:13], s[28:29]
	v_mul_f64 v[131:132], v[16:17], s[22:23]
	v_mul_f64 v[133:134], v[16:17], s[24:25]
	v_mul_f64 v[135:136], v[16:17], s[18:19]
	v_mul_f64 v[16:17], v[16:17], s[28:29]
	v_mul_f64 v[137:138], v[44:45], s[12:13]
	v_mul_f64 v[139:140], v[44:45], s[18:19]
	v_mul_f64 v[141:142], v[44:45], s[22:23]
	v_mul_f64 v[44:45], v[44:45], s[20:21]
	v_mul_f64 v[143:144], v[79:80], s[20:21]
	v_mul_f64 v[145:146], v[79:80], s[28:29]
	v_mul_f64 v[147:148], v[79:80], s[26:27]
	v_mul_f64 v[149:150], v[79:80], s[18:19]
	v_add_f64 v[6:7], v[6:7], v[38:39]
	v_add_f64 v[4:5], v[4:5], v[36:37]
	v_mul_f64 v[151:152], v[83:84], s[20:21]
	v_mul_f64 v[153:154], v[83:84], s[28:29]
	;; [unrolled: 1-line block ×4, first 2 shown]
	v_fma_f64 v[165:166], v[64:65], s[14:15], v[99:100]
	v_fma_f64 v[99:100], v[64:65], s[14:15], -v[99:100]
	v_fma_f64 v[167:168], v[64:65], s[6:7], v[103:104]
	v_fma_f64 v[169:170], v[66:67], s[14:15], -v[105:106]
	;; [unrolled: 2-line block ×4, first 2 shown]
	v_fma_f64 v[179:180], v[66:67], s[10:11], -v[115:116]
	v_fma_f64 v[115:116], v[66:67], s[10:11], v[115:116]
	v_fma_f64 v[171:172], v[64:65], s[0:1], v[107:108]
	v_fma_f64 v[107:108], v[64:65], s[0:1], -v[107:108]
	v_fma_f64 v[177:178], v[66:67], s[0:1], -v[113:114]
	v_fma_f64 v[113:114], v[66:67], s[0:1], v[113:114]
	v_fma_f64 v[103:104], v[64:65], s[6:7], -v[103:104]
	v_fma_f64 v[111:112], v[66:67], s[6:7], v[111:112]
	;; [unrolled: 2-line block ×8, first 2 shown]
	v_fma_f64 v[237:238], v[87:88], s[14:15], v[46:47]
	v_fma_f64 v[87:88], v[87:88], s[14:15], -v[46:47]
	v_fma_f64 v[46:47], v[64:65], s[4:5], v[50:51]
	v_fma_f64 v[50:51], v[64:65], s[4:5], -v[50:51]
	v_fma_f64 v[64:65], v[66:67], s[4:5], -v[62:63]
	v_fma_f64 v[62:63], v[66:67], s[4:5], v[62:63]
	v_add_f64 v[6:7], v[6:7], v[58:59]
	v_add_f64 v[4:5], v[4:5], v[56:57]
	v_fma_f64 v[181:182], v[69:70], s[6:7], v[117:118]
	v_fma_f64 v[183:184], v[71:72], s[6:7], -v[119:120]
	v_fma_f64 v[117:118], v[69:70], s[6:7], -v[117:118]
	v_fma_f64 v[119:120], v[71:72], s[6:7], v[119:120]
	v_fma_f64 v[185:186], v[69:70], s[10:11], v[121:122]
	v_fma_f64 v[187:188], v[71:72], s[10:11], -v[123:124]
	v_fma_f64 v[121:122], v[69:70], s[10:11], -v[121:122]
	v_fma_f64 v[123:124], v[71:72], s[10:11], v[123:124]
	;; [unrolled: 4-line block ×3, first 2 shown]
	v_fma_f64 v[48:49], v[69:70], s[14:15], -v[48:49]
	v_fma_f64 v[69:70], v[69:70], s[0:1], v[125:126]
	v_fma_f64 v[125:126], v[71:72], s[4:5], -v[101:102]
	v_fma_f64 v[101:102], v[71:72], s[4:5], v[101:102]
	;; [unrolled: 2-line block ×3, first 2 shown]
	v_fma_f64 v[193:194], v[71:72], s[0:1], v[127:128]
	v_fma_f64 v[71:72], v[71:72], s[0:1], -v[127:128]
	v_fma_f64 v[127:128], v[73:74], s[4:5], v[89:90]
	v_fma_f64 v[89:90], v[73:74], s[4:5], -v[89:90]
	;; [unrolled: 2-line block ×5, first 2 shown]
	v_fma_f64 v[201:202], v[73:74], s[6:7], -v[129:130]
	v_fma_f64 v[73:74], v[73:74], s[6:7], v[129:130]
	v_fma_f64 v[129:130], v[75:76], s[4:5], -v[91:92]
	v_fma_f64 v[91:92], v[75:76], s[4:5], v[91:92]
	;; [unrolled: 2-line block ×5, first 2 shown]
	v_fma_f64 v[209:210], v[75:76], s[6:7], v[135:136]
	v_fma_f64 v[75:76], v[75:76], s[6:7], -v[135:136]
	v_fma_f64 v[135:136], v[77:78], s[0:1], v[137:138]
	v_fma_f64 v[137:138], v[77:78], s[0:1], -v[137:138]
	;; [unrolled: 2-line block ×5, first 2 shown]
	v_fma_f64 v[217:218], v[77:78], s[14:15], -v[141:142]
	v_fma_f64 v[77:78], v[77:78], s[14:15], v[141:142]
	v_fma_f64 v[141:142], v[81:82], s[10:11], v[143:144]
	v_fma_f64 v[143:144], v[81:82], s[10:11], -v[143:144]
	v_fma_f64 v[219:220], v[81:82], s[0:1], v[145:146]
	v_fma_f64 v[145:146], v[81:82], s[0:1], -v[145:146]
	v_fma_f64 v[221:222], v[81:82], s[14:15], v[147:148]
	v_fma_f64 v[147:148], v[81:82], s[14:15], -v[147:148]
	v_fma_f64 v[223:224], v[81:82], s[6:7], v[149:150]
	v_fma_f64 v[149:150], v[81:82], s[6:7], -v[149:150]
	v_fma_f64 v[225:226], v[85:86], s[10:11], -v[151:152]
	v_fma_f64 v[151:152], v[85:86], s[10:11], v[151:152]
	v_fma_f64 v[227:228], v[85:86], s[0:1], -v[153:154]
	v_fma_f64 v[153:154], v[85:86], s[0:1], v[153:154]
	v_fma_f64 v[66:67], v[81:82], s[4:5], -v[79:80]
	v_fma_f64 v[79:80], v[81:82], s[4:5], v[79:80]
	v_fma_f64 v[81:82], v[85:86], s[4:5], v[83:84]
	v_fma_f64 v[56:57], v[85:86], s[4:5], -v[83:84]
	v_add_f64 v[58:59], v[2:3], v[165:166]
	v_add_f64 v[83:84], v[0:1], v[169:170]
	;; [unrolled: 1-line block ×110, first 2 shown]
	v_or_b32_e32 v12, v239, v53
	v_lshl_add_u32 v12, v12, 4, 0
	ds_write_b128 v12, v[32:35] offset:256
	ds_write_b128 v12, v[28:31] offset:768
	ds_write_b128 v12, v[20:23] offset:1024
	ds_write_b128 v12, v[4:7] offset:1280
	ds_write_b128 v12, v[0:3] offset:1536
	ds_write_b128 v12, v[8:11] offset:1792
	ds_write_b128 v12, v[24:27] offset:2048
	ds_write_b128 v12, v[40:43] offset:512
	ds_write_b128 v12, v[36:39] offset:2304
	ds_write_b128 v12, v[44:47]
	ds_write_b128 v12, v[14:17] offset:2560
.LBB0_21:
	s_or_b32 exec_lo, exec_lo, s30
	v_mul_u32_u24_e32 v0, 5, v52
	s_waitcnt lgkmcnt(0)
	s_barrier
	buffer_gl0_inv
	s_mov_b32 s5, 0x3febb67a
	v_lshlrev_b32_e32 v0, 4, v0
	v_add_co_u32 v0, s0, s8, v0
	v_add_co_ci_u32_e64 v1, null, s9, 0, s0
	v_add_co_u32 v16, s0, 0xae0, v0
	v_add_co_ci_u32_e64 v17, s0, 0, v1, s0
	v_add_co_u32 v8, s0, 0x800, v0
	v_add_co_ci_u32_e64 v9, s0, 0, v1, s0
	s_mov_b32 s0, 0xe8584caa
	s_clause 0x4
	global_load_dwordx4 v[0:3], v[16:17], off offset:32
	global_load_dwordx4 v[4:7], v[8:9], off offset:800
	;; [unrolled: 1-line block ×5, first 2 shown]
	ds_read_b128 v[20:23], v68 offset:8448
	ds_read_b128 v[24:27], v68 offset:14080
	;; [unrolled: 1-line block ×5, first 2 shown]
	s_mov_b32 s1, 0xbfebb67a
	s_mov_b32 s4, s0
	s_waitcnt vmcnt(4) lgkmcnt(4)
	v_mul_f64 v[40:41], v[20:21], v[2:3]
	s_waitcnt vmcnt(3) lgkmcnt(3)
	v_mul_f64 v[42:43], v[24:25], v[6:7]
	;; [unrolled: 2-line block ×3, first 2 shown]
	v_mul_f64 v[2:3], v[22:23], v[2:3]
	v_mul_f64 v[6:7], v[26:27], v[6:7]
	;; [unrolled: 1-line block ×3, first 2 shown]
	v_fma_f64 v[22:23], v[22:23], v[0:1], -v[40:41]
	v_fma_f64 v[26:27], v[26:27], v[4:5], -v[42:43]
	s_waitcnt vmcnt(1) lgkmcnt(1)
	v_mul_f64 v[40:41], v[34:35], v[14:15]
	v_mul_f64 v[14:15], v[32:33], v[14:15]
	s_waitcnt vmcnt(0) lgkmcnt(0)
	v_mul_f64 v[42:43], v[38:39], v[18:19]
	v_mul_f64 v[18:19], v[36:37], v[18:19]
	v_fma_f64 v[20:21], v[20:21], v[0:1], v[2:3]
	v_fma_f64 v[4:5], v[24:25], v[4:5], v[6:7]
	v_fma_f64 v[6:7], v[30:31], v[8:9], -v[44:45]
	v_fma_f64 v[8:9], v[28:29], v[8:9], v[10:11]
	v_add_f64 v[0:1], v[22:23], v[26:27]
	v_fma_f64 v[24:25], v[32:33], v[12:13], v[40:41]
	v_fma_f64 v[12:13], v[34:35], v[12:13], -v[14:15]
	v_fma_f64 v[14:15], v[36:37], v[16:17], v[42:43]
	v_fma_f64 v[16:17], v[38:39], v[16:17], -v[18:19]
	v_add_f64 v[34:35], v[22:23], -v[26:27]
	v_add_f64 v[10:11], v[20:21], v[4:5]
	v_add_f64 v[18:19], v[20:21], -v[4:5]
	v_fma_f64 v[28:29], v[0:1], -0.5, v[6:7]
	ds_read_b128 v[0:3], v68
	v_add_f64 v[6:7], v[6:7], v[22:23]
	v_add_f64 v[30:31], v[24:25], v[14:15]
	;; [unrolled: 1-line block ×3, first 2 shown]
	v_add_f64 v[38:39], v[12:13], -v[16:17]
	v_fma_f64 v[10:11], v[10:11], -0.5, v[8:9]
	v_add_f64 v[8:9], v[8:9], v[20:21]
	s_waitcnt lgkmcnt(0)
	s_barrier
	buffer_gl0_inv
	v_add_f64 v[12:13], v[2:3], v[12:13]
	v_fma_f64 v[36:37], v[18:19], s[4:5], v[28:29]
	v_fma_f64 v[18:19], v[18:19], s[0:1], v[28:29]
	v_add_f64 v[28:29], v[0:1], v[24:25]
	v_add_f64 v[24:25], v[24:25], -v[14:15]
	v_fma_f64 v[0:1], v[30:31], -0.5, v[0:1]
	v_fma_f64 v[2:3], v[32:33], -0.5, v[2:3]
	v_fma_f64 v[20:21], v[34:35], s[0:1], v[10:11]
	v_fma_f64 v[10:11], v[34:35], s[4:5], v[10:11]
	v_add_f64 v[4:5], v[8:9], v[4:5]
	v_add_f64 v[6:7], v[6:7], v[26:27]
	;; [unrolled: 1-line block ×3, first 2 shown]
	v_mul_f64 v[22:23], v[36:37], s[0:1]
	v_mul_f64 v[32:33], v[36:37], 0.5
	v_mul_f64 v[30:31], v[18:19], s[0:1]
	v_mul_f64 v[18:19], v[18:19], -0.5
	v_add_f64 v[14:15], v[28:29], v[14:15]
	v_fma_f64 v[16:17], v[38:39], s[0:1], v[0:1]
	v_fma_f64 v[28:29], v[24:25], s[4:5], v[2:3]
	;; [unrolled: 1-line block ×4, first 2 shown]
	v_add_f64 v[2:3], v[12:13], v[6:7]
	v_fma_f64 v[22:23], v[20:21], 0.5, v[22:23]
	v_fma_f64 v[32:33], v[20:21], s[4:5], v[32:33]
	v_fma_f64 v[30:31], v[10:11], -0.5, v[30:31]
	v_fma_f64 v[34:35], v[10:11], s[4:5], v[18:19]
	v_add_f64 v[0:1], v[14:15], v[4:5]
	v_add_f64 v[4:5], v[14:15], -v[4:5]
	v_add_f64 v[6:7], v[12:13], -v[6:7]
	v_add_f64 v[8:9], v[16:17], v[22:23]
	v_add_f64 v[10:11], v[28:29], v[32:33]
	;; [unrolled: 1-line block ×4, first 2 shown]
	v_add_f64 v[16:17], v[16:17], -v[22:23]
	v_add_f64 v[18:19], v[28:29], -v[32:33]
	;; [unrolled: 1-line block ×4, first 2 shown]
	ds_write_b128 v68, v[0:3]
	ds_write_b128 v68, v[4:7] offset:8448
	ds_write_b128 v68, v[8:11] offset:2816
	;; [unrolled: 1-line block ×5, first 2 shown]
	s_waitcnt lgkmcnt(0)
	s_barrier
	buffer_gl0_inv
	s_and_saveexec_b32 s0, vcc_lo
	s_cbranch_execz .LBB0_23
; %bb.22:
	v_lshl_add_u32 v16, v52, 4, 0
	v_mov_b32_e32 v53, 0
	v_add_co_u32 v30, vcc_lo, s2, v54
	v_add_nc_u32_e32 v8, 0xb0, v52
	ds_read_b128 v[0:3], v16
	ds_read_b128 v[4:7], v16 offset:2816
	v_lshlrev_b64 v[12:13], 4, v[52:53]
	v_mov_b32_e32 v9, v53
	v_add_co_ci_u32_e32 v31, vcc_lo, s3, v55, vcc_lo
	v_add_nc_u32_e32 v10, 0x160, v52
	v_mov_b32_e32 v11, v53
	v_add_co_u32 v12, vcc_lo, v30, v12
	v_lshlrev_b64 v[8:9], 4, v[8:9]
	v_add_co_ci_u32_e32 v13, vcc_lo, v31, v13, vcc_lo
	v_lshlrev_b64 v[10:11], 4, v[10:11]
	v_add_nc_u32_e32 v24, 0x2c0, v52
	v_mov_b32_e32 v25, v53
	v_add_co_u32 v20, vcc_lo, v30, v8
	v_add_co_ci_u32_e32 v21, vcc_lo, v31, v9, vcc_lo
	s_waitcnt lgkmcnt(1)
	global_store_dwordx4 v[12:13], v[0:3], off
	v_add_nc_u32_e32 v12, 0x210, v52
	v_mov_b32_e32 v13, v53
	v_add_co_u32 v22, vcc_lo, v30, v10
	v_add_co_ci_u32_e32 v23, vcc_lo, v31, v11, vcc_lo
	ds_read_b128 v[0:3], v16 offset:5632
	ds_read_b128 v[8:11], v16 offset:8448
	v_lshlrev_b64 v[26:27], 4, v[12:13]
	ds_read_b128 v[12:15], v16 offset:11264
	ds_read_b128 v[16:19], v16 offset:14080
	v_add_nc_u32_e32 v52, 0x370, v52
	v_lshlrev_b64 v[24:25], 4, v[24:25]
	v_add_co_u32 v26, vcc_lo, v30, v26
	v_lshlrev_b64 v[28:29], 4, v[52:53]
	v_add_co_ci_u32_e32 v27, vcc_lo, v31, v27, vcc_lo
	v_add_co_u32 v24, vcc_lo, v30, v24
	v_add_co_ci_u32_e32 v25, vcc_lo, v31, v25, vcc_lo
	v_add_co_u32 v28, vcc_lo, v30, v28
	v_add_co_ci_u32_e32 v29, vcc_lo, v31, v29, vcc_lo
	s_waitcnt lgkmcnt(4)
	global_store_dwordx4 v[20:21], v[4:7], off
	s_waitcnt lgkmcnt(3)
	global_store_dwordx4 v[22:23], v[0:3], off
	;; [unrolled: 2-line block ×5, first 2 shown]
.LBB0_23:
	s_endpgm
	.section	.rodata,"a",@progbits
	.p2align	6, 0x0
	.amdhsa_kernel fft_rtc_back_len1056_factors_2_2_2_2_11_6_wgs_176_tpt_176_halfLds_dp_ip_CI_unitstride_sbrr_C2R_dirReg
		.amdhsa_group_segment_fixed_size 0
		.amdhsa_private_segment_fixed_size 0
		.amdhsa_kernarg_size 88
		.amdhsa_user_sgpr_count 6
		.amdhsa_user_sgpr_private_segment_buffer 1
		.amdhsa_user_sgpr_dispatch_ptr 0
		.amdhsa_user_sgpr_queue_ptr 0
		.amdhsa_user_sgpr_kernarg_segment_ptr 1
		.amdhsa_user_sgpr_dispatch_id 0
		.amdhsa_user_sgpr_flat_scratch_init 0
		.amdhsa_user_sgpr_private_segment_size 0
		.amdhsa_wavefront_size32 1
		.amdhsa_uses_dynamic_stack 0
		.amdhsa_system_sgpr_private_segment_wavefront_offset 0
		.amdhsa_system_sgpr_workgroup_id_x 1
		.amdhsa_system_sgpr_workgroup_id_y 0
		.amdhsa_system_sgpr_workgroup_id_z 0
		.amdhsa_system_sgpr_workgroup_info 0
		.amdhsa_system_vgpr_workitem_id 0
		.amdhsa_next_free_vgpr 240
		.amdhsa_next_free_sgpr 31
		.amdhsa_reserve_vcc 1
		.amdhsa_reserve_flat_scratch 0
		.amdhsa_float_round_mode_32 0
		.amdhsa_float_round_mode_16_64 0
		.amdhsa_float_denorm_mode_32 3
		.amdhsa_float_denorm_mode_16_64 3
		.amdhsa_dx10_clamp 1
		.amdhsa_ieee_mode 1
		.amdhsa_fp16_overflow 0
		.amdhsa_workgroup_processor_mode 1
		.amdhsa_memory_ordered 1
		.amdhsa_forward_progress 0
		.amdhsa_shared_vgpr_count 0
		.amdhsa_exception_fp_ieee_invalid_op 0
		.amdhsa_exception_fp_denorm_src 0
		.amdhsa_exception_fp_ieee_div_zero 0
		.amdhsa_exception_fp_ieee_overflow 0
		.amdhsa_exception_fp_ieee_underflow 0
		.amdhsa_exception_fp_ieee_inexact 0
		.amdhsa_exception_int_div_zero 0
	.end_amdhsa_kernel
	.text
.Lfunc_end0:
	.size	fft_rtc_back_len1056_factors_2_2_2_2_11_6_wgs_176_tpt_176_halfLds_dp_ip_CI_unitstride_sbrr_C2R_dirReg, .Lfunc_end0-fft_rtc_back_len1056_factors_2_2_2_2_11_6_wgs_176_tpt_176_halfLds_dp_ip_CI_unitstride_sbrr_C2R_dirReg
                                        ; -- End function
	.section	.AMDGPU.csdata,"",@progbits
; Kernel info:
; codeLenInByte = 8036
; NumSgprs: 33
; NumVgprs: 240
; ScratchSize: 0
; MemoryBound: 0
; FloatMode: 240
; IeeeMode: 1
; LDSByteSize: 0 bytes/workgroup (compile time only)
; SGPRBlocks: 4
; VGPRBlocks: 29
; NumSGPRsForWavesPerEU: 33
; NumVGPRsForWavesPerEU: 240
; Occupancy: 4
; WaveLimiterHint : 1
; COMPUTE_PGM_RSRC2:SCRATCH_EN: 0
; COMPUTE_PGM_RSRC2:USER_SGPR: 6
; COMPUTE_PGM_RSRC2:TRAP_HANDLER: 0
; COMPUTE_PGM_RSRC2:TGID_X_EN: 1
; COMPUTE_PGM_RSRC2:TGID_Y_EN: 0
; COMPUTE_PGM_RSRC2:TGID_Z_EN: 0
; COMPUTE_PGM_RSRC2:TIDIG_COMP_CNT: 0
	.text
	.p2alignl 6, 3214868480
	.fill 48, 4, 3214868480
	.type	__hip_cuid_f7cd21f6a27f720f,@object ; @__hip_cuid_f7cd21f6a27f720f
	.section	.bss,"aw",@nobits
	.globl	__hip_cuid_f7cd21f6a27f720f
__hip_cuid_f7cd21f6a27f720f:
	.byte	0                               ; 0x0
	.size	__hip_cuid_f7cd21f6a27f720f, 1

	.ident	"AMD clang version 19.0.0git (https://github.com/RadeonOpenCompute/llvm-project roc-6.4.0 25133 c7fe45cf4b819c5991fe208aaa96edf142730f1d)"
	.section	".note.GNU-stack","",@progbits
	.addrsig
	.addrsig_sym __hip_cuid_f7cd21f6a27f720f
	.amdgpu_metadata
---
amdhsa.kernels:
  - .args:
      - .actual_access:  read_only
        .address_space:  global
        .offset:         0
        .size:           8
        .value_kind:     global_buffer
      - .offset:         8
        .size:           8
        .value_kind:     by_value
      - .actual_access:  read_only
        .address_space:  global
        .offset:         16
        .size:           8
        .value_kind:     global_buffer
      - .actual_access:  read_only
        .address_space:  global
        .offset:         24
        .size:           8
        .value_kind:     global_buffer
      - .offset:         32
        .size:           8
        .value_kind:     by_value
      - .actual_access:  read_only
        .address_space:  global
        .offset:         40
        .size:           8
        .value_kind:     global_buffer
      - .actual_access:  read_only
        .address_space:  global
        .offset:         48
        .size:           8
        .value_kind:     global_buffer
      - .offset:         56
        .size:           4
        .value_kind:     by_value
      - .actual_access:  read_only
        .address_space:  global
        .offset:         64
        .size:           8
        .value_kind:     global_buffer
      - .actual_access:  read_only
        .address_space:  global
        .offset:         72
        .size:           8
        .value_kind:     global_buffer
      - .address_space:  global
        .offset:         80
        .size:           8
        .value_kind:     global_buffer
    .group_segment_fixed_size: 0
    .kernarg_segment_align: 8
    .kernarg_segment_size: 88
    .language:       OpenCL C
    .language_version:
      - 2
      - 0
    .max_flat_workgroup_size: 176
    .name:           fft_rtc_back_len1056_factors_2_2_2_2_11_6_wgs_176_tpt_176_halfLds_dp_ip_CI_unitstride_sbrr_C2R_dirReg
    .private_segment_fixed_size: 0
    .sgpr_count:     33
    .sgpr_spill_count: 0
    .symbol:         fft_rtc_back_len1056_factors_2_2_2_2_11_6_wgs_176_tpt_176_halfLds_dp_ip_CI_unitstride_sbrr_C2R_dirReg.kd
    .uniform_work_group_size: 1
    .uses_dynamic_stack: false
    .vgpr_count:     240
    .vgpr_spill_count: 0
    .wavefront_size: 32
    .workgroup_processor_mode: 1
amdhsa.target:   amdgcn-amd-amdhsa--gfx1030
amdhsa.version:
  - 1
  - 2
...

	.end_amdgpu_metadata
